;; amdgpu-corpus repo=triton-lang/triton kind=triton arch=gfx1201 opt=O3 lang=triton
	.amdgcn_target "amdgcn-amd-amdhsa--gfx1201"
	.amdhsa_code_object_version 5
	.text
	.globl	_layer_norm_bwd_dwdb            ; -- Begin function _layer_norm_bwd_dwdb
	.p2align	8
	.type	_layer_norm_bwd_dwdb,@function
_layer_norm_bwd_dwdb:                   ; @_layer_norm_bwd_dwdb
.Lfunc_begin0:
	.file	1 "/root/src/amdgpu-assembly/repos/triton-lang__triton-aot" "layer_norm_bwd.py"
	.loc	1 73 0                          ; layer_norm_bwd.py:73:0
	.cfi_sections .debug_frame
	.cfi_startproc
; %bb.0:
	s_clause 0x1
	s_load_b64 s[2:3], s[0:1], 0x20
	s_load_b128 s[4:7], s[0:1], 0x10
.Ltmp0:
	.loc	1 82 45 prologue_end            ; layer_norm_bwd.py:82:45
	s_bfe_u32 s8, ttmp8, 0x50019
	v_and_b32_e32 v1, 31, v0
	s_lshl_b32 s8, s8, 5
	.loc	1 82 17 is_stmt 0               ; layer_norm_bwd.py:82:17
	s_lshl_b32 s41, ttmp9, 7
	.loc	1 82 45                         ; layer_norm_bwd.py:82:45
	s_and_b32 s42, s8, 0x60
	s_delay_alu instid0(VALU_DEP_1) | instid1(SALU_CYCLE_1)
	.loc	1 82 32                         ; layer_norm_bwd.py:82:32
	v_or3_b32 v0, v1, s42, s41
	.loc	1 86 25 is_stmt 1               ; layer_norm_bwd.py:86:25
	s_wait_kmcnt 0x0
	s_cmp_lt_i32 s2, 1
	s_delay_alu instid0(VALU_DEP_1)
	.loc	1 88 54                         ; layer_norm_bwd.py:88:54
	v_cmp_gt_i32_e32 vcc_lo, s3, v0
	.loc	1 86 25                         ; layer_norm_bwd.py:86:25
	s_cbranch_scc1 .LBB0_134
; %bb.1:                                ; %.lr.ph.preheader
	.loc	1 0 25 is_stmt 0                ; layer_norm_bwd.py:0:25
	s_load_b128 s[8:11], s[0:1], 0x0
	.loc	1 90 22 is_stmt 1               ; layer_norm_bwd.py:90:22
	v_add3_u32 v1, s41, s42, v1
	v_dual_mov_b32 v92, 0 :: v_dual_mov_b32 v95, 0
	v_dual_mov_b32 v96, 0 :: v_dual_mov_b32 v93, 0
	;; [unrolled: 1-line block ×32, first 2 shown]
	s_lshl_b32 s1, s3, 1
	s_mul_i32 s12, s3, 3
	s_lshl_b32 s13, s3, 2
	s_mul_i32 s14, s3, 5
	s_mul_i32 s15, s3, 6
	;; [unrolled: 1-line block ×3, first 2 shown]
	s_lshl_b32 s17, s3, 3
	s_mul_i32 s18, s3, 9
	s_mul_i32 s19, s3, 10
	;; [unrolled: 1-line block ×7, first 2 shown]
	s_lshl_b32 s25, s3, 4
	s_mul_i32 s26, s3, 17
	s_mul_i32 s27, s3, 18
	;; [unrolled: 1-line block ×15, first 2 shown]
	s_lshl_b32 s42, s3, 5
	s_mov_b32 s43, 0
	s_branch .LBB0_3
.LBB0_2:                                ;   in Loop: Header=BB0_3 Depth=1
	.loc	1 0 22 is_stmt 0                ; layer_norm_bwd.py:0:22
	s_or_b32 exec_lo, exec_lo, s44
	.loc	1 90 14 is_stmt 1               ; layer_norm_bwd.py:90:14
	s_wait_loadcnt 0x0
	v_dual_add_f32 v127, v127, v129 :: v_dual_add_f32 v128, v128, v131
	v_dual_add_f32 v126, v126, v130 :: v_dual_add_f32 v125, v125, v133
	v_dual_add_f32 v124, v124, v132 :: v_dual_add_f32 v123, v123, v135
	v_dual_add_f32 v122, v122, v134 :: v_dual_add_f32 v121, v121, v137
	v_dual_add_f32 v120, v120, v136 :: v_dual_add_f32 v119, v119, v139
	v_dual_add_f32 v118, v118, v138 :: v_dual_add_f32 v117, v117, v141
	v_dual_add_f32 v116, v116, v140 :: v_dual_add_f32 v115, v115, v143
	v_dual_add_f32 v114, v114, v142 :: v_dual_add_f32 v113, v113, v145
	v_dual_add_f32 v112, v112, v144 :: v_dual_add_f32 v111, v111, v147
	v_dual_add_f32 v110, v110, v146 :: v_dual_add_f32 v109, v109, v149
	v_dual_add_f32 v108, v108, v148 :: v_dual_add_f32 v107, v107, v151
	v_dual_add_f32 v106, v106, v150 :: v_dual_add_f32 v105, v105, v153
	v_dual_add_f32 v104, v104, v152 :: v_dual_add_f32 v103, v103, v155
	v_dual_add_f32 v102, v102, v154 :: v_dual_add_f32 v101, v101, v157
	v_dual_add_f32 v100, v100, v156 :: v_dual_add_f32 v99, v99, v159
	v_dual_add_f32 v98, v98, v158 :: v_dual_add_f32 v97, v97, v160
	.loc	1 91 14                         ; layer_norm_bwd.py:91:14
	v_dual_add_f32 v92, v92, v161 :: v_dual_add_f32 v95, v95, v2
	v_dual_add_f32 v96, v96, v162 :: v_dual_add_f32 v93, v93, v3
	;; [unrolled: 1-line block ×16, first 2 shown]
	.loc	1 86 25                         ; layer_norm_bwd.py:86:25
	v_add_nc_u32_e32 v1, s42, v1
	s_add_co_i32 s43, s43, 32
	s_wait_alu depctr_sa_sdst(0)
	s_cmp_lt_i32 s43, s2
	s_cbranch_scc0 .LBB0_131
.LBB0_3:                                ; %.lr.ph
                                        ; =>This Inner Loop Header: Depth=1
	.loc	1 0 25 is_stmt 0                ; layer_norm_bwd.py:0:25
	v_ashrrev_i32_e32 v2, 31, v1
	v_mov_b32_e32 v129, 0
	.loc	1 90 22 is_stmt 1               ; layer_norm_bwd.py:90:22
	s_and_saveexec_b32 s44, vcc_lo
	s_cbranch_execz .LBB0_5
; %bb.4:                                ;   in Loop: Header=BB0_3 Depth=1
	.loc	1 0 22 is_stmt 0                ; layer_norm_bwd.py:0:22
	s_delay_alu instid0(VALU_DEP_2) | instskip(SKIP_1) | instid1(VALU_DEP_1)
	v_lshlrev_b64_e32 v[3:4], 2, v[1:2]
	s_wait_kmcnt 0x0
	v_add_co_u32 v3, s0, s8, v3
	s_wait_alu depctr_va_sdst(0)
	s_delay_alu instid0(VALU_DEP_2)
	v_add_co_ci_u32_e64 v4, null, s9, v4, s0
	.loc	1 90 22                         ; layer_norm_bwd.py:90:22
	global_load_b32 v129, v[3:4], off
.LBB0_5:                                ;   in Loop: Header=BB0_3 Depth=1
	.loc	1 0 22                          ; layer_norm_bwd.py:0:22
	s_or_b32 exec_lo, exec_lo, s44
	v_dual_mov_b32 v130, 0 :: v_dual_add_nc_u32 v3, s3, v1
	.loc	1 87 19 is_stmt 1               ; layer_norm_bwd.py:87:19
	s_wait_alu depctr_sa_sdst(0)
	s_add_co_i32 s0, s43, 1
	v_mov_b32_e32 v131, 0
	.loc	1 88 32                         ; layer_norm_bwd.py:88:32
	s_wait_alu depctr_sa_sdst(0)
	s_cmp_lt_i32 s0, s2
	.loc	1 90 27                         ; layer_norm_bwd.py:90:27
	v_ashrrev_i32_e32 v4, 31, v3
	.loc	1 88 32                         ; layer_norm_bwd.py:88:32
	s_cselect_b32 s0, -1, 0
	.loc	1 88 38 is_stmt 0               ; layer_norm_bwd.py:88:38
	s_wait_alu depctr_sa_sdst(0)
	s_and_b32 s44, vcc_lo, s0
	s_delay_alu instid0(VALU_DEP_1)
	v_lshlrev_b64_e32 v[3:4], 2, v[3:4]
	.loc	1 90 22 is_stmt 1               ; layer_norm_bwd.py:90:22
	s_and_saveexec_b32 s45, s44
	s_cbranch_execz .LBB0_7
; %bb.6:                                ;   in Loop: Header=BB0_3 Depth=1
	.loc	1 90 27 is_stmt 0               ; layer_norm_bwd.py:90:27
	s_wait_kmcnt 0x0
	s_delay_alu instid0(VALU_DEP_1)
	v_add_co_u32 v5, s0, s8, v3
	s_wait_alu depctr_va_sdst(0)
	v_add_co_ci_u32_e64 v6, null, s9, v4, s0
	.loc	1 90 22                         ; layer_norm_bwd.py:90:22
	global_load_b32 v131, v[5:6], off
.LBB0_7:                                ;   in Loop: Header=BB0_3 Depth=1
	.loc	1 0 22                          ; layer_norm_bwd.py:0:22
	s_or_b32 exec_lo, exec_lo, s45
	v_add_nc_u32_e32 v5, s1, v1
	.loc	1 87 19 is_stmt 1               ; layer_norm_bwd.py:87:19
	s_add_co_i32 s0, s43, 2
	.loc	1 88 32                         ; layer_norm_bwd.py:88:32
	s_wait_alu depctr_sa_sdst(0)
	s_cmp_lt_i32 s0, s2
	s_cselect_b32 s0, -1, 0
	.loc	1 90 27                         ; layer_norm_bwd.py:90:27
	v_ashrrev_i32_e32 v6, 31, v5
	.loc	1 88 38                         ; layer_norm_bwd.py:88:38
	s_wait_alu depctr_sa_sdst(0)
	s_and_b32 s45, vcc_lo, s0
	s_delay_alu instid0(VALU_DEP_1)
	v_lshlrev_b64_e32 v[5:6], 2, v[5:6]
	.loc	1 90 22                         ; layer_norm_bwd.py:90:22
	s_and_saveexec_b32 s46, s45
	s_cbranch_execz .LBB0_9
; %bb.8:                                ;   in Loop: Header=BB0_3 Depth=1
	.loc	1 90 27 is_stmt 0               ; layer_norm_bwd.py:90:27
	s_wait_kmcnt 0x0
	s_delay_alu instid0(VALU_DEP_1)
	v_add_co_u32 v7, s0, s8, v5
	s_wait_alu depctr_va_sdst(0)
	v_add_co_ci_u32_e64 v8, null, s9, v6, s0
	.loc	1 90 22                         ; layer_norm_bwd.py:90:22
	global_load_b32 v130, v[7:8], off
.LBB0_9:                                ;   in Loop: Header=BB0_3 Depth=1
	.loc	1 0 22                          ; layer_norm_bwd.py:0:22
	s_or_b32 exec_lo, exec_lo, s46
	v_dual_mov_b32 v132, 0 :: v_dual_add_nc_u32 v7, s12, v1
	.loc	1 87 19 is_stmt 1               ; layer_norm_bwd.py:87:19
	s_add_co_i32 s0, s43, 3
	v_mov_b32_e32 v133, 0
	.loc	1 88 32                         ; layer_norm_bwd.py:88:32
	s_wait_alu depctr_sa_sdst(0)
	s_cmp_lt_i32 s0, s2
	.loc	1 90 27                         ; layer_norm_bwd.py:90:27
	v_ashrrev_i32_e32 v8, 31, v7
	.loc	1 88 32                         ; layer_norm_bwd.py:88:32
	s_cselect_b32 s0, -1, 0
	.loc	1 88 38 is_stmt 0               ; layer_norm_bwd.py:88:38
	s_wait_alu depctr_sa_sdst(0)
	s_and_b32 s46, vcc_lo, s0
	s_delay_alu instid0(VALU_DEP_1)
	v_lshlrev_b64_e32 v[7:8], 2, v[7:8]
	.loc	1 90 22 is_stmt 1               ; layer_norm_bwd.py:90:22
	s_and_saveexec_b32 s47, s46
	s_cbranch_execz .LBB0_11
; %bb.10:                               ;   in Loop: Header=BB0_3 Depth=1
	.loc	1 90 27 is_stmt 0               ; layer_norm_bwd.py:90:27
	s_wait_kmcnt 0x0
	s_delay_alu instid0(VALU_DEP_1)
	v_add_co_u32 v9, s0, s8, v7
	s_wait_alu depctr_va_sdst(0)
	v_add_co_ci_u32_e64 v10, null, s9, v8, s0
	.loc	1 90 22                         ; layer_norm_bwd.py:90:22
	global_load_b32 v133, v[9:10], off
.LBB0_11:                               ;   in Loop: Header=BB0_3 Depth=1
	.loc	1 0 22                          ; layer_norm_bwd.py:0:22
	s_or_b32 exec_lo, exec_lo, s47
	v_add_nc_u32_e32 v9, s13, v1
	.loc	1 87 19 is_stmt 1               ; layer_norm_bwd.py:87:19
	s_add_co_i32 s0, s43, 4
	.loc	1 88 32                         ; layer_norm_bwd.py:88:32
	s_wait_alu depctr_sa_sdst(0)
	s_cmp_lt_i32 s0, s2
	s_cselect_b32 s0, -1, 0
	.loc	1 90 27                         ; layer_norm_bwd.py:90:27
	v_ashrrev_i32_e32 v10, 31, v9
	.loc	1 88 38                         ; layer_norm_bwd.py:88:38
	s_wait_alu depctr_sa_sdst(0)
	s_and_b32 s47, vcc_lo, s0
	s_delay_alu instid0(VALU_DEP_1)
	v_lshlrev_b64_e32 v[9:10], 2, v[9:10]
	.loc	1 90 22                         ; layer_norm_bwd.py:90:22
	s_and_saveexec_b32 s48, s47
	s_cbranch_execz .LBB0_13
; %bb.12:                               ;   in Loop: Header=BB0_3 Depth=1
	.loc	1 90 27 is_stmt 0               ; layer_norm_bwd.py:90:27
	s_wait_kmcnt 0x0
	s_delay_alu instid0(VALU_DEP_1)
	v_add_co_u32 v11, s0, s8, v9
	s_wait_alu depctr_va_sdst(0)
	v_add_co_ci_u32_e64 v12, null, s9, v10, s0
	.loc	1 90 22                         ; layer_norm_bwd.py:90:22
	global_load_b32 v132, v[11:12], off
.LBB0_13:                               ;   in Loop: Header=BB0_3 Depth=1
	.loc	1 0 22                          ; layer_norm_bwd.py:0:22
	s_or_b32 exec_lo, exec_lo, s48
	v_dual_mov_b32 v134, 0 :: v_dual_add_nc_u32 v11, s14, v1
	.loc	1 87 19 is_stmt 1               ; layer_norm_bwd.py:87:19
	s_add_co_i32 s0, s43, 5
	v_mov_b32_e32 v135, 0
	.loc	1 88 32                         ; layer_norm_bwd.py:88:32
	s_wait_alu depctr_sa_sdst(0)
	s_cmp_lt_i32 s0, s2
	.loc	1 90 27                         ; layer_norm_bwd.py:90:27
	v_ashrrev_i32_e32 v12, 31, v11
	.loc	1 88 32                         ; layer_norm_bwd.py:88:32
	s_cselect_b32 s0, -1, 0
	.loc	1 88 38 is_stmt 0               ; layer_norm_bwd.py:88:38
	s_wait_alu depctr_sa_sdst(0)
	s_and_b32 s48, vcc_lo, s0
	s_delay_alu instid0(VALU_DEP_1)
	v_lshlrev_b64_e32 v[11:12], 2, v[11:12]
	.loc	1 90 22 is_stmt 1               ; layer_norm_bwd.py:90:22
	s_and_saveexec_b32 s49, s48
	s_cbranch_execz .LBB0_15
; %bb.14:                               ;   in Loop: Header=BB0_3 Depth=1
	.loc	1 90 27 is_stmt 0               ; layer_norm_bwd.py:90:27
	s_wait_kmcnt 0x0
	s_delay_alu instid0(VALU_DEP_1)
	v_add_co_u32 v13, s0, s8, v11
	s_wait_alu depctr_va_sdst(0)
	v_add_co_ci_u32_e64 v14, null, s9, v12, s0
	.loc	1 90 22                         ; layer_norm_bwd.py:90:22
	global_load_b32 v135, v[13:14], off
.LBB0_15:                               ;   in Loop: Header=BB0_3 Depth=1
	.loc	1 0 22                          ; layer_norm_bwd.py:0:22
	s_or_b32 exec_lo, exec_lo, s49
	v_add_nc_u32_e32 v13, s15, v1
	.loc	1 87 19 is_stmt 1               ; layer_norm_bwd.py:87:19
	s_add_co_i32 s0, s43, 6
	.loc	1 88 32                         ; layer_norm_bwd.py:88:32
	s_wait_alu depctr_sa_sdst(0)
	s_cmp_lt_i32 s0, s2
	s_cselect_b32 s0, -1, 0
	.loc	1 90 27                         ; layer_norm_bwd.py:90:27
	v_ashrrev_i32_e32 v14, 31, v13
	.loc	1 88 38                         ; layer_norm_bwd.py:88:38
	s_wait_alu depctr_sa_sdst(0)
	s_and_b32 s49, vcc_lo, s0
	s_delay_alu instid0(VALU_DEP_1)
	v_lshlrev_b64_e32 v[13:14], 2, v[13:14]
	.loc	1 90 22                         ; layer_norm_bwd.py:90:22
	s_and_saveexec_b32 s50, s49
	s_cbranch_execz .LBB0_17
; %bb.16:                               ;   in Loop: Header=BB0_3 Depth=1
	.loc	1 90 27 is_stmt 0               ; layer_norm_bwd.py:90:27
	s_wait_kmcnt 0x0
	s_delay_alu instid0(VALU_DEP_1)
	v_add_co_u32 v15, s0, s8, v13
	s_wait_alu depctr_va_sdst(0)
	v_add_co_ci_u32_e64 v16, null, s9, v14, s0
	.loc	1 90 22                         ; layer_norm_bwd.py:90:22
	global_load_b32 v134, v[15:16], off
.LBB0_17:                               ;   in Loop: Header=BB0_3 Depth=1
	.loc	1 0 22                          ; layer_norm_bwd.py:0:22
	s_or_b32 exec_lo, exec_lo, s50
	v_dual_mov_b32 v136, 0 :: v_dual_add_nc_u32 v15, s16, v1
	.loc	1 87 19 is_stmt 1               ; layer_norm_bwd.py:87:19
	s_add_co_i32 s0, s43, 7
	v_mov_b32_e32 v137, 0
	.loc	1 88 32                         ; layer_norm_bwd.py:88:32
	s_wait_alu depctr_sa_sdst(0)
	s_cmp_lt_i32 s0, s2
	.loc	1 90 27                         ; layer_norm_bwd.py:90:27
	v_ashrrev_i32_e32 v16, 31, v15
	.loc	1 88 32                         ; layer_norm_bwd.py:88:32
	s_cselect_b32 s0, -1, 0
	.loc	1 88 38 is_stmt 0               ; layer_norm_bwd.py:88:38
	s_wait_alu depctr_sa_sdst(0)
	s_and_b32 s50, vcc_lo, s0
	s_delay_alu instid0(VALU_DEP_1)
	v_lshlrev_b64_e32 v[15:16], 2, v[15:16]
	.loc	1 90 22 is_stmt 1               ; layer_norm_bwd.py:90:22
	s_and_saveexec_b32 s51, s50
	s_cbranch_execz .LBB0_19
; %bb.18:                               ;   in Loop: Header=BB0_3 Depth=1
	.loc	1 90 27 is_stmt 0               ; layer_norm_bwd.py:90:27
	s_wait_kmcnt 0x0
	s_delay_alu instid0(VALU_DEP_1)
	v_add_co_u32 v17, s0, s8, v15
	s_wait_alu depctr_va_sdst(0)
	v_add_co_ci_u32_e64 v18, null, s9, v16, s0
	.loc	1 90 22                         ; layer_norm_bwd.py:90:22
	global_load_b32 v137, v[17:18], off
.LBB0_19:                               ;   in Loop: Header=BB0_3 Depth=1
	.loc	1 0 22                          ; layer_norm_bwd.py:0:22
	s_or_b32 exec_lo, exec_lo, s51
	v_add_nc_u32_e32 v17, s17, v1
	.loc	1 87 19 is_stmt 1               ; layer_norm_bwd.py:87:19
	s_add_co_i32 s0, s43, 8
	.loc	1 88 32                         ; layer_norm_bwd.py:88:32
	s_wait_alu depctr_sa_sdst(0)
	s_cmp_lt_i32 s0, s2
	s_cselect_b32 s0, -1, 0
	.loc	1 90 27                         ; layer_norm_bwd.py:90:27
	v_ashrrev_i32_e32 v18, 31, v17
	.loc	1 88 38                         ; layer_norm_bwd.py:88:38
	s_wait_alu depctr_sa_sdst(0)
	s_and_b32 s51, vcc_lo, s0
	s_delay_alu instid0(VALU_DEP_1)
	v_lshlrev_b64_e32 v[17:18], 2, v[17:18]
	.loc	1 90 22                         ; layer_norm_bwd.py:90:22
	s_and_saveexec_b32 s52, s51
	s_cbranch_execz .LBB0_21
; %bb.20:                               ;   in Loop: Header=BB0_3 Depth=1
	.loc	1 90 27 is_stmt 0               ; layer_norm_bwd.py:90:27
	s_wait_kmcnt 0x0
	s_delay_alu instid0(VALU_DEP_1)
	v_add_co_u32 v19, s0, s8, v17
	s_wait_alu depctr_va_sdst(0)
	v_add_co_ci_u32_e64 v20, null, s9, v18, s0
	.loc	1 90 22                         ; layer_norm_bwd.py:90:22
	global_load_b32 v136, v[19:20], off
.LBB0_21:                               ;   in Loop: Header=BB0_3 Depth=1
	.loc	1 0 22                          ; layer_norm_bwd.py:0:22
	s_or_b32 exec_lo, exec_lo, s52
	v_dual_mov_b32 v138, 0 :: v_dual_add_nc_u32 v19, s18, v1
	.loc	1 87 19 is_stmt 1               ; layer_norm_bwd.py:87:19
	s_add_co_i32 s0, s43, 9
	v_mov_b32_e32 v139, 0
	.loc	1 88 32                         ; layer_norm_bwd.py:88:32
	s_wait_alu depctr_sa_sdst(0)
	s_cmp_lt_i32 s0, s2
	.loc	1 90 27                         ; layer_norm_bwd.py:90:27
	v_ashrrev_i32_e32 v20, 31, v19
	.loc	1 88 32                         ; layer_norm_bwd.py:88:32
	s_cselect_b32 s0, -1, 0
	.loc	1 88 38 is_stmt 0               ; layer_norm_bwd.py:88:38
	s_wait_alu depctr_sa_sdst(0)
	s_and_b32 s52, vcc_lo, s0
	s_delay_alu instid0(VALU_DEP_1)
	v_lshlrev_b64_e32 v[19:20], 2, v[19:20]
	.loc	1 90 22 is_stmt 1               ; layer_norm_bwd.py:90:22
	s_and_saveexec_b32 s53, s52
	s_cbranch_execz .LBB0_23
; %bb.22:                               ;   in Loop: Header=BB0_3 Depth=1
	.loc	1 90 27 is_stmt 0               ; layer_norm_bwd.py:90:27
	s_wait_kmcnt 0x0
	s_delay_alu instid0(VALU_DEP_1)
	v_add_co_u32 v21, s0, s8, v19
	s_wait_alu depctr_va_sdst(0)
	v_add_co_ci_u32_e64 v22, null, s9, v20, s0
	.loc	1 90 22                         ; layer_norm_bwd.py:90:22
	global_load_b32 v139, v[21:22], off
.LBB0_23:                               ;   in Loop: Header=BB0_3 Depth=1
	.loc	1 0 22                          ; layer_norm_bwd.py:0:22
	s_or_b32 exec_lo, exec_lo, s53
	v_add_nc_u32_e32 v21, s19, v1
	.loc	1 87 19 is_stmt 1               ; layer_norm_bwd.py:87:19
	s_add_co_i32 s0, s43, 10
	.loc	1 88 32                         ; layer_norm_bwd.py:88:32
	s_wait_alu depctr_sa_sdst(0)
	s_cmp_lt_i32 s0, s2
	s_cselect_b32 s0, -1, 0
	.loc	1 90 27                         ; layer_norm_bwd.py:90:27
	v_ashrrev_i32_e32 v22, 31, v21
	.loc	1 88 38                         ; layer_norm_bwd.py:88:38
	s_wait_alu depctr_sa_sdst(0)
	s_and_b32 s53, vcc_lo, s0
	s_delay_alu instid0(VALU_DEP_1)
	v_lshlrev_b64_e32 v[21:22], 2, v[21:22]
	.loc	1 90 22                         ; layer_norm_bwd.py:90:22
	s_and_saveexec_b32 s54, s53
	s_cbranch_execz .LBB0_25
; %bb.24:                               ;   in Loop: Header=BB0_3 Depth=1
	.loc	1 90 27 is_stmt 0               ; layer_norm_bwd.py:90:27
	s_wait_kmcnt 0x0
	s_delay_alu instid0(VALU_DEP_1)
	v_add_co_u32 v23, s0, s8, v21
	s_wait_alu depctr_va_sdst(0)
	v_add_co_ci_u32_e64 v24, null, s9, v22, s0
	.loc	1 90 22                         ; layer_norm_bwd.py:90:22
	global_load_b32 v138, v[23:24], off
.LBB0_25:                               ;   in Loop: Header=BB0_3 Depth=1
	.loc	1 0 22                          ; layer_norm_bwd.py:0:22
	s_or_b32 exec_lo, exec_lo, s54
	v_dual_mov_b32 v140, 0 :: v_dual_add_nc_u32 v23, s20, v1
	.loc	1 87 19 is_stmt 1               ; layer_norm_bwd.py:87:19
	s_add_co_i32 s0, s43, 11
	v_mov_b32_e32 v141, 0
	.loc	1 88 32                         ; layer_norm_bwd.py:88:32
	s_wait_alu depctr_sa_sdst(0)
	s_cmp_lt_i32 s0, s2
	.loc	1 90 27                         ; layer_norm_bwd.py:90:27
	v_ashrrev_i32_e32 v24, 31, v23
	.loc	1 88 32                         ; layer_norm_bwd.py:88:32
	s_cselect_b32 s0, -1, 0
	.loc	1 88 38 is_stmt 0               ; layer_norm_bwd.py:88:38
	s_wait_alu depctr_sa_sdst(0)
	s_and_b32 s54, vcc_lo, s0
	s_delay_alu instid0(VALU_DEP_1)
	v_lshlrev_b64_e32 v[23:24], 2, v[23:24]
	.loc	1 90 22 is_stmt 1               ; layer_norm_bwd.py:90:22
	s_and_saveexec_b32 s55, s54
	s_cbranch_execz .LBB0_27
; %bb.26:                               ;   in Loop: Header=BB0_3 Depth=1
	.loc	1 90 27 is_stmt 0               ; layer_norm_bwd.py:90:27
	s_wait_kmcnt 0x0
	s_delay_alu instid0(VALU_DEP_1)
	v_add_co_u32 v25, s0, s8, v23
	s_wait_alu depctr_va_sdst(0)
	v_add_co_ci_u32_e64 v26, null, s9, v24, s0
	.loc	1 90 22                         ; layer_norm_bwd.py:90:22
	global_load_b32 v141, v[25:26], off
.LBB0_27:                               ;   in Loop: Header=BB0_3 Depth=1
	.loc	1 0 22                          ; layer_norm_bwd.py:0:22
	s_or_b32 exec_lo, exec_lo, s55
	v_add_nc_u32_e32 v25, s21, v1
	.loc	1 87 19 is_stmt 1               ; layer_norm_bwd.py:87:19
	s_add_co_i32 s0, s43, 12
	.loc	1 88 32                         ; layer_norm_bwd.py:88:32
	s_wait_alu depctr_sa_sdst(0)
	s_cmp_lt_i32 s0, s2
	s_cselect_b32 s0, -1, 0
	.loc	1 90 27                         ; layer_norm_bwd.py:90:27
	v_ashrrev_i32_e32 v26, 31, v25
	.loc	1 88 38                         ; layer_norm_bwd.py:88:38
	s_wait_alu depctr_sa_sdst(0)
	s_and_b32 s55, vcc_lo, s0
	s_delay_alu instid0(VALU_DEP_1)
	v_lshlrev_b64_e32 v[25:26], 2, v[25:26]
	.loc	1 90 22                         ; layer_norm_bwd.py:90:22
	s_and_saveexec_b32 s56, s55
	s_cbranch_execz .LBB0_29
; %bb.28:                               ;   in Loop: Header=BB0_3 Depth=1
	.loc	1 90 27 is_stmt 0               ; layer_norm_bwd.py:90:27
	s_wait_kmcnt 0x0
	s_delay_alu instid0(VALU_DEP_1)
	v_add_co_u32 v27, s0, s8, v25
	s_wait_alu depctr_va_sdst(0)
	v_add_co_ci_u32_e64 v28, null, s9, v26, s0
	.loc	1 90 22                         ; layer_norm_bwd.py:90:22
	global_load_b32 v140, v[27:28], off
.LBB0_29:                               ;   in Loop: Header=BB0_3 Depth=1
	.loc	1 0 22                          ; layer_norm_bwd.py:0:22
	s_or_b32 exec_lo, exec_lo, s56
	v_dual_mov_b32 v142, 0 :: v_dual_add_nc_u32 v27, s22, v1
	.loc	1 87 19 is_stmt 1               ; layer_norm_bwd.py:87:19
	s_add_co_i32 s0, s43, 13
	v_mov_b32_e32 v143, 0
	.loc	1 88 32                         ; layer_norm_bwd.py:88:32
	s_wait_alu depctr_sa_sdst(0)
	s_cmp_lt_i32 s0, s2
	.loc	1 90 27                         ; layer_norm_bwd.py:90:27
	v_ashrrev_i32_e32 v28, 31, v27
	.loc	1 88 32                         ; layer_norm_bwd.py:88:32
	s_cselect_b32 s0, -1, 0
	.loc	1 88 38 is_stmt 0               ; layer_norm_bwd.py:88:38
	s_wait_alu depctr_sa_sdst(0)
	s_and_b32 s56, vcc_lo, s0
	s_delay_alu instid0(VALU_DEP_1)
	v_lshlrev_b64_e32 v[27:28], 2, v[27:28]
	.loc	1 90 22 is_stmt 1               ; layer_norm_bwd.py:90:22
	s_and_saveexec_b32 s57, s56
	s_cbranch_execz .LBB0_31
; %bb.30:                               ;   in Loop: Header=BB0_3 Depth=1
	.loc	1 90 27 is_stmt 0               ; layer_norm_bwd.py:90:27
	s_wait_kmcnt 0x0
	s_delay_alu instid0(VALU_DEP_1)
	v_add_co_u32 v29, s0, s8, v27
	s_wait_alu depctr_va_sdst(0)
	v_add_co_ci_u32_e64 v30, null, s9, v28, s0
	.loc	1 90 22                         ; layer_norm_bwd.py:90:22
	global_load_b32 v143, v[29:30], off
.LBB0_31:                               ;   in Loop: Header=BB0_3 Depth=1
	.loc	1 0 22                          ; layer_norm_bwd.py:0:22
	s_or_b32 exec_lo, exec_lo, s57
	v_add_nc_u32_e32 v29, s23, v1
	.loc	1 87 19 is_stmt 1               ; layer_norm_bwd.py:87:19
	s_add_co_i32 s0, s43, 14
	.loc	1 88 32                         ; layer_norm_bwd.py:88:32
	s_wait_alu depctr_sa_sdst(0)
	s_cmp_lt_i32 s0, s2
	s_cselect_b32 s0, -1, 0
	.loc	1 90 27                         ; layer_norm_bwd.py:90:27
	v_ashrrev_i32_e32 v30, 31, v29
	.loc	1 88 38                         ; layer_norm_bwd.py:88:38
	s_wait_alu depctr_sa_sdst(0)
	s_and_b32 s57, vcc_lo, s0
	s_delay_alu instid0(VALU_DEP_1)
	v_lshlrev_b64_e32 v[29:30], 2, v[29:30]
	.loc	1 90 22                         ; layer_norm_bwd.py:90:22
	s_and_saveexec_b32 s58, s57
	s_cbranch_execz .LBB0_33
; %bb.32:                               ;   in Loop: Header=BB0_3 Depth=1
	.loc	1 90 27 is_stmt 0               ; layer_norm_bwd.py:90:27
	s_wait_kmcnt 0x0
	s_delay_alu instid0(VALU_DEP_1)
	v_add_co_u32 v31, s0, s8, v29
	s_wait_alu depctr_va_sdst(0)
	v_add_co_ci_u32_e64 v32, null, s9, v30, s0
	.loc	1 90 22                         ; layer_norm_bwd.py:90:22
	global_load_b32 v142, v[31:32], off
.LBB0_33:                               ;   in Loop: Header=BB0_3 Depth=1
	.loc	1 0 22                          ; layer_norm_bwd.py:0:22
	s_or_b32 exec_lo, exec_lo, s58
	v_dual_mov_b32 v144, 0 :: v_dual_add_nc_u32 v31, s24, v1
	.loc	1 87 19 is_stmt 1               ; layer_norm_bwd.py:87:19
	s_add_co_i32 s0, s43, 15
	v_mov_b32_e32 v145, 0
	.loc	1 88 32                         ; layer_norm_bwd.py:88:32
	s_wait_alu depctr_sa_sdst(0)
	s_cmp_lt_i32 s0, s2
	.loc	1 90 27                         ; layer_norm_bwd.py:90:27
	v_ashrrev_i32_e32 v32, 31, v31
	.loc	1 88 32                         ; layer_norm_bwd.py:88:32
	s_cselect_b32 s0, -1, 0
	.loc	1 88 38 is_stmt 0               ; layer_norm_bwd.py:88:38
	s_wait_alu depctr_sa_sdst(0)
	s_and_b32 s58, vcc_lo, s0
	s_delay_alu instid0(VALU_DEP_1)
	v_lshlrev_b64_e32 v[31:32], 2, v[31:32]
	.loc	1 90 22 is_stmt 1               ; layer_norm_bwd.py:90:22
	s_and_saveexec_b32 s59, s58
	s_cbranch_execz .LBB0_35
; %bb.34:                               ;   in Loop: Header=BB0_3 Depth=1
	.loc	1 90 27 is_stmt 0               ; layer_norm_bwd.py:90:27
	s_wait_kmcnt 0x0
	s_delay_alu instid0(VALU_DEP_1)
	v_add_co_u32 v33, s0, s8, v31
	s_wait_alu depctr_va_sdst(0)
	v_add_co_ci_u32_e64 v34, null, s9, v32, s0
	.loc	1 90 22                         ; layer_norm_bwd.py:90:22
	global_load_b32 v145, v[33:34], off
.LBB0_35:                               ;   in Loop: Header=BB0_3 Depth=1
	.loc	1 0 22                          ; layer_norm_bwd.py:0:22
	s_or_b32 exec_lo, exec_lo, s59
	v_add_nc_u32_e32 v33, s25, v1
	.loc	1 87 19 is_stmt 1               ; layer_norm_bwd.py:87:19
	s_add_co_i32 s0, s43, 16
	.loc	1 88 32                         ; layer_norm_bwd.py:88:32
	s_wait_alu depctr_sa_sdst(0)
	s_cmp_lt_i32 s0, s2
	s_cselect_b32 s0, -1, 0
	.loc	1 90 27                         ; layer_norm_bwd.py:90:27
	v_ashrrev_i32_e32 v34, 31, v33
	.loc	1 88 38                         ; layer_norm_bwd.py:88:38
	s_wait_alu depctr_sa_sdst(0)
	s_and_b32 s59, vcc_lo, s0
	s_delay_alu instid0(VALU_DEP_1)
	v_lshlrev_b64_e32 v[33:34], 2, v[33:34]
	.loc	1 90 22                         ; layer_norm_bwd.py:90:22
	s_and_saveexec_b32 s60, s59
	s_cbranch_execz .LBB0_37
; %bb.36:                               ;   in Loop: Header=BB0_3 Depth=1
	.loc	1 90 27 is_stmt 0               ; layer_norm_bwd.py:90:27
	s_wait_kmcnt 0x0
	s_delay_alu instid0(VALU_DEP_1)
	v_add_co_u32 v35, s0, s8, v33
	s_wait_alu depctr_va_sdst(0)
	v_add_co_ci_u32_e64 v36, null, s9, v34, s0
	.loc	1 90 22                         ; layer_norm_bwd.py:90:22
	global_load_b32 v144, v[35:36], off
.LBB0_37:                               ;   in Loop: Header=BB0_3 Depth=1
	.loc	1 0 22                          ; layer_norm_bwd.py:0:22
	s_or_b32 exec_lo, exec_lo, s60
	v_dual_mov_b32 v146, 0 :: v_dual_add_nc_u32 v35, s26, v1
	.loc	1 87 19 is_stmt 1               ; layer_norm_bwd.py:87:19
	s_add_co_i32 s0, s43, 17
	v_mov_b32_e32 v147, 0
	.loc	1 88 32                         ; layer_norm_bwd.py:88:32
	s_wait_alu depctr_sa_sdst(0)
	s_cmp_lt_i32 s0, s2
	.loc	1 90 27                         ; layer_norm_bwd.py:90:27
	v_ashrrev_i32_e32 v36, 31, v35
	.loc	1 88 32                         ; layer_norm_bwd.py:88:32
	s_cselect_b32 s0, -1, 0
	.loc	1 88 38 is_stmt 0               ; layer_norm_bwd.py:88:38
	s_wait_alu depctr_sa_sdst(0)
	s_and_b32 s60, vcc_lo, s0
	s_delay_alu instid0(VALU_DEP_1)
	v_lshlrev_b64_e32 v[35:36], 2, v[35:36]
	.loc	1 90 22 is_stmt 1               ; layer_norm_bwd.py:90:22
	s_and_saveexec_b32 s61, s60
	s_cbranch_execz .LBB0_39
; %bb.38:                               ;   in Loop: Header=BB0_3 Depth=1
	.loc	1 90 27 is_stmt 0               ; layer_norm_bwd.py:90:27
	s_wait_kmcnt 0x0
	s_delay_alu instid0(VALU_DEP_1)
	v_add_co_u32 v37, s0, s8, v35
	s_wait_alu depctr_va_sdst(0)
	v_add_co_ci_u32_e64 v38, null, s9, v36, s0
	.loc	1 90 22                         ; layer_norm_bwd.py:90:22
	global_load_b32 v147, v[37:38], off
.LBB0_39:                               ;   in Loop: Header=BB0_3 Depth=1
	.loc	1 0 22                          ; layer_norm_bwd.py:0:22
	s_or_b32 exec_lo, exec_lo, s61
	v_add_nc_u32_e32 v37, s27, v1
	.loc	1 87 19 is_stmt 1               ; layer_norm_bwd.py:87:19
	s_add_co_i32 s0, s43, 18
	.loc	1 88 32                         ; layer_norm_bwd.py:88:32
	s_wait_alu depctr_sa_sdst(0)
	s_cmp_lt_i32 s0, s2
	s_cselect_b32 s0, -1, 0
	.loc	1 90 27                         ; layer_norm_bwd.py:90:27
	v_ashrrev_i32_e32 v38, 31, v37
	.loc	1 88 38                         ; layer_norm_bwd.py:88:38
	s_wait_alu depctr_sa_sdst(0)
	s_and_b32 s61, vcc_lo, s0
	s_delay_alu instid0(VALU_DEP_1)
	v_lshlrev_b64_e32 v[37:38], 2, v[37:38]
	.loc	1 90 22                         ; layer_norm_bwd.py:90:22
	s_and_saveexec_b32 s62, s61
	s_cbranch_execz .LBB0_41
; %bb.40:                               ;   in Loop: Header=BB0_3 Depth=1
	.loc	1 90 27 is_stmt 0               ; layer_norm_bwd.py:90:27
	s_wait_kmcnt 0x0
	s_delay_alu instid0(VALU_DEP_1)
	v_add_co_u32 v39, s0, s8, v37
	s_wait_alu depctr_va_sdst(0)
	v_add_co_ci_u32_e64 v40, null, s9, v38, s0
	.loc	1 90 22                         ; layer_norm_bwd.py:90:22
	global_load_b32 v146, v[39:40], off
.LBB0_41:                               ;   in Loop: Header=BB0_3 Depth=1
	.loc	1 0 22                          ; layer_norm_bwd.py:0:22
	s_or_b32 exec_lo, exec_lo, s62
	v_dual_mov_b32 v148, 0 :: v_dual_add_nc_u32 v39, s28, v1
	.loc	1 87 19 is_stmt 1               ; layer_norm_bwd.py:87:19
	s_add_co_i32 s0, s43, 19
	v_mov_b32_e32 v149, 0
	.loc	1 88 32                         ; layer_norm_bwd.py:88:32
	s_wait_alu depctr_sa_sdst(0)
	s_cmp_lt_i32 s0, s2
	.loc	1 90 27                         ; layer_norm_bwd.py:90:27
	v_ashrrev_i32_e32 v40, 31, v39
	.loc	1 88 32                         ; layer_norm_bwd.py:88:32
	s_cselect_b32 s0, -1, 0
	.loc	1 88 38 is_stmt 0               ; layer_norm_bwd.py:88:38
	s_wait_alu depctr_sa_sdst(0)
	s_and_b32 s62, vcc_lo, s0
	s_delay_alu instid0(VALU_DEP_1)
	v_lshlrev_b64_e32 v[39:40], 2, v[39:40]
	.loc	1 90 22 is_stmt 1               ; layer_norm_bwd.py:90:22
	s_and_saveexec_b32 s63, s62
	s_cbranch_execz .LBB0_43
; %bb.42:                               ;   in Loop: Header=BB0_3 Depth=1
	.loc	1 90 27 is_stmt 0               ; layer_norm_bwd.py:90:27
	s_wait_kmcnt 0x0
	s_delay_alu instid0(VALU_DEP_1)
	v_add_co_u32 v41, s0, s8, v39
	s_wait_alu depctr_va_sdst(0)
	v_add_co_ci_u32_e64 v42, null, s9, v40, s0
	.loc	1 90 22                         ; layer_norm_bwd.py:90:22
	global_load_b32 v149, v[41:42], off
.LBB0_43:                               ;   in Loop: Header=BB0_3 Depth=1
	.loc	1 0 22                          ; layer_norm_bwd.py:0:22
	s_or_b32 exec_lo, exec_lo, s63
	v_add_nc_u32_e32 v41, s29, v1
	.loc	1 87 19 is_stmt 1               ; layer_norm_bwd.py:87:19
	s_add_co_i32 s0, s43, 20
	.loc	1 88 32                         ; layer_norm_bwd.py:88:32
	s_wait_alu depctr_sa_sdst(0)
	s_cmp_lt_i32 s0, s2
	s_cselect_b32 s0, -1, 0
	.loc	1 90 27                         ; layer_norm_bwd.py:90:27
	v_ashrrev_i32_e32 v42, 31, v41
	.loc	1 88 38                         ; layer_norm_bwd.py:88:38
	s_wait_alu depctr_sa_sdst(0)
	s_and_b32 s63, vcc_lo, s0
	s_delay_alu instid0(VALU_DEP_1)
	v_lshlrev_b64_e32 v[41:42], 2, v[41:42]
	.loc	1 90 22                         ; layer_norm_bwd.py:90:22
	s_and_saveexec_b32 s64, s63
	s_cbranch_execz .LBB0_45
; %bb.44:                               ;   in Loop: Header=BB0_3 Depth=1
	.loc	1 90 27 is_stmt 0               ; layer_norm_bwd.py:90:27
	s_wait_kmcnt 0x0
	s_delay_alu instid0(VALU_DEP_1)
	v_add_co_u32 v43, s0, s8, v41
	s_wait_alu depctr_va_sdst(0)
	v_add_co_ci_u32_e64 v44, null, s9, v42, s0
	.loc	1 90 22                         ; layer_norm_bwd.py:90:22
	global_load_b32 v148, v[43:44], off
.LBB0_45:                               ;   in Loop: Header=BB0_3 Depth=1
	.loc	1 0 22                          ; layer_norm_bwd.py:0:22
	s_or_b32 exec_lo, exec_lo, s64
	v_dual_mov_b32 v150, 0 :: v_dual_add_nc_u32 v43, s30, v1
	.loc	1 87 19 is_stmt 1               ; layer_norm_bwd.py:87:19
	s_add_co_i32 s0, s43, 21
	v_mov_b32_e32 v151, 0
	.loc	1 88 32                         ; layer_norm_bwd.py:88:32
	s_wait_alu depctr_sa_sdst(0)
	s_cmp_lt_i32 s0, s2
	.loc	1 90 27                         ; layer_norm_bwd.py:90:27
	v_ashrrev_i32_e32 v44, 31, v43
	.loc	1 88 32                         ; layer_norm_bwd.py:88:32
	s_cselect_b32 s0, -1, 0
	.loc	1 88 38 is_stmt 0               ; layer_norm_bwd.py:88:38
	s_wait_alu depctr_sa_sdst(0)
	s_and_b32 s64, vcc_lo, s0
	s_delay_alu instid0(VALU_DEP_1)
	v_lshlrev_b64_e32 v[43:44], 2, v[43:44]
	.loc	1 90 22 is_stmt 1               ; layer_norm_bwd.py:90:22
	s_and_saveexec_b32 s65, s64
	s_cbranch_execz .LBB0_47
; %bb.46:                               ;   in Loop: Header=BB0_3 Depth=1
	.loc	1 90 27 is_stmt 0               ; layer_norm_bwd.py:90:27
	s_wait_kmcnt 0x0
	s_delay_alu instid0(VALU_DEP_1)
	v_add_co_u32 v45, s0, s8, v43
	s_wait_alu depctr_va_sdst(0)
	v_add_co_ci_u32_e64 v46, null, s9, v44, s0
	.loc	1 90 22                         ; layer_norm_bwd.py:90:22
	global_load_b32 v151, v[45:46], off
.LBB0_47:                               ;   in Loop: Header=BB0_3 Depth=1
	.loc	1 0 22                          ; layer_norm_bwd.py:0:22
	s_or_b32 exec_lo, exec_lo, s65
	v_add_nc_u32_e32 v45, s31, v1
	.loc	1 87 19 is_stmt 1               ; layer_norm_bwd.py:87:19
	s_add_co_i32 s0, s43, 22
	.loc	1 88 32                         ; layer_norm_bwd.py:88:32
	s_wait_alu depctr_sa_sdst(0)
	s_cmp_lt_i32 s0, s2
	s_cselect_b32 s0, -1, 0
	.loc	1 90 27                         ; layer_norm_bwd.py:90:27
	v_ashrrev_i32_e32 v46, 31, v45
	.loc	1 88 38                         ; layer_norm_bwd.py:88:38
	s_wait_alu depctr_sa_sdst(0)
	s_and_b32 s65, vcc_lo, s0
	s_delay_alu instid0(VALU_DEP_1)
	v_lshlrev_b64_e32 v[45:46], 2, v[45:46]
	.loc	1 90 22                         ; layer_norm_bwd.py:90:22
	s_and_saveexec_b32 s66, s65
	s_cbranch_execz .LBB0_49
; %bb.48:                               ;   in Loop: Header=BB0_3 Depth=1
	.loc	1 90 27 is_stmt 0               ; layer_norm_bwd.py:90:27
	s_wait_kmcnt 0x0
	s_delay_alu instid0(VALU_DEP_1)
	v_add_co_u32 v47, s0, s8, v45
	s_wait_alu depctr_va_sdst(0)
	v_add_co_ci_u32_e64 v48, null, s9, v46, s0
	.loc	1 90 22                         ; layer_norm_bwd.py:90:22
	global_load_b32 v150, v[47:48], off
.LBB0_49:                               ;   in Loop: Header=BB0_3 Depth=1
	.loc	1 0 22                          ; layer_norm_bwd.py:0:22
	s_or_b32 exec_lo, exec_lo, s66
	v_dual_mov_b32 v152, 0 :: v_dual_add_nc_u32 v47, s33, v1
	.loc	1 87 19 is_stmt 1               ; layer_norm_bwd.py:87:19
	s_add_co_i32 s0, s43, 23
	v_mov_b32_e32 v153, 0
	.loc	1 88 32                         ; layer_norm_bwd.py:88:32
	s_wait_alu depctr_sa_sdst(0)
	s_cmp_lt_i32 s0, s2
	.loc	1 90 27                         ; layer_norm_bwd.py:90:27
	v_ashrrev_i32_e32 v48, 31, v47
	.loc	1 88 32                         ; layer_norm_bwd.py:88:32
	s_cselect_b32 s0, -1, 0
	.loc	1 88 38 is_stmt 0               ; layer_norm_bwd.py:88:38
	s_wait_alu depctr_sa_sdst(0)
	s_and_b32 s66, vcc_lo, s0
	s_delay_alu instid0(VALU_DEP_1)
	v_lshlrev_b64_e32 v[47:48], 2, v[47:48]
	.loc	1 90 22 is_stmt 1               ; layer_norm_bwd.py:90:22
	s_and_saveexec_b32 s67, s66
	s_cbranch_execz .LBB0_51
; %bb.50:                               ;   in Loop: Header=BB0_3 Depth=1
	.loc	1 90 27 is_stmt 0               ; layer_norm_bwd.py:90:27
	s_wait_kmcnt 0x0
	s_delay_alu instid0(VALU_DEP_1)
	v_add_co_u32 v49, s0, s8, v47
	s_wait_alu depctr_va_sdst(0)
	v_add_co_ci_u32_e64 v50, null, s9, v48, s0
	.loc	1 90 22                         ; layer_norm_bwd.py:90:22
	global_load_b32 v153, v[49:50], off
.LBB0_51:                               ;   in Loop: Header=BB0_3 Depth=1
	.loc	1 0 22                          ; layer_norm_bwd.py:0:22
	s_or_b32 exec_lo, exec_lo, s67
	v_add_nc_u32_e32 v49, s34, v1
	.loc	1 87 19 is_stmt 1               ; layer_norm_bwd.py:87:19
	s_add_co_i32 s0, s43, 24
	.loc	1 88 32                         ; layer_norm_bwd.py:88:32
	s_wait_alu depctr_sa_sdst(0)
	s_cmp_lt_i32 s0, s2
	s_cselect_b32 s0, -1, 0
	.loc	1 90 27                         ; layer_norm_bwd.py:90:27
	v_ashrrev_i32_e32 v50, 31, v49
	.loc	1 88 38                         ; layer_norm_bwd.py:88:38
	s_wait_alu depctr_sa_sdst(0)
	s_and_b32 s67, vcc_lo, s0
	s_delay_alu instid0(VALU_DEP_1)
	v_lshlrev_b64_e32 v[49:50], 2, v[49:50]
	.loc	1 90 22                         ; layer_norm_bwd.py:90:22
	s_and_saveexec_b32 s68, s67
	s_cbranch_execz .LBB0_53
; %bb.52:                               ;   in Loop: Header=BB0_3 Depth=1
	.loc	1 90 27 is_stmt 0               ; layer_norm_bwd.py:90:27
	s_wait_kmcnt 0x0
	s_delay_alu instid0(VALU_DEP_1)
	v_add_co_u32 v51, s0, s8, v49
	s_wait_alu depctr_va_sdst(0)
	v_add_co_ci_u32_e64 v52, null, s9, v50, s0
	.loc	1 90 22                         ; layer_norm_bwd.py:90:22
	global_load_b32 v152, v[51:52], off
.LBB0_53:                               ;   in Loop: Header=BB0_3 Depth=1
	.loc	1 0 22                          ; layer_norm_bwd.py:0:22
	s_or_b32 exec_lo, exec_lo, s68
	v_dual_mov_b32 v154, 0 :: v_dual_add_nc_u32 v51, s35, v1
	.loc	1 87 19 is_stmt 1               ; layer_norm_bwd.py:87:19
	s_add_co_i32 s0, s43, 25
	v_mov_b32_e32 v155, 0
	.loc	1 88 32                         ; layer_norm_bwd.py:88:32
	s_wait_alu depctr_sa_sdst(0)
	s_cmp_lt_i32 s0, s2
	.loc	1 90 27                         ; layer_norm_bwd.py:90:27
	v_ashrrev_i32_e32 v52, 31, v51
	.loc	1 88 32                         ; layer_norm_bwd.py:88:32
	s_cselect_b32 s0, -1, 0
	.loc	1 88 38 is_stmt 0               ; layer_norm_bwd.py:88:38
	s_wait_alu depctr_sa_sdst(0)
	s_and_b32 s68, vcc_lo, s0
	s_delay_alu instid0(VALU_DEP_1)
	v_lshlrev_b64_e32 v[51:52], 2, v[51:52]
	.loc	1 90 22 is_stmt 1               ; layer_norm_bwd.py:90:22
	s_and_saveexec_b32 s69, s68
	s_cbranch_execz .LBB0_55
; %bb.54:                               ;   in Loop: Header=BB0_3 Depth=1
	.loc	1 90 27 is_stmt 0               ; layer_norm_bwd.py:90:27
	s_wait_kmcnt 0x0
	s_delay_alu instid0(VALU_DEP_1)
	v_add_co_u32 v53, s0, s8, v51
	s_wait_alu depctr_va_sdst(0)
	v_add_co_ci_u32_e64 v54, null, s9, v52, s0
	.loc	1 90 22                         ; layer_norm_bwd.py:90:22
	global_load_b32 v155, v[53:54], off
.LBB0_55:                               ;   in Loop: Header=BB0_3 Depth=1
	.loc	1 0 22                          ; layer_norm_bwd.py:0:22
	s_or_b32 exec_lo, exec_lo, s69
	v_add_nc_u32_e32 v53, s36, v1
	.loc	1 87 19 is_stmt 1               ; layer_norm_bwd.py:87:19
	s_add_co_i32 s0, s43, 26
	.loc	1 88 32                         ; layer_norm_bwd.py:88:32
	s_wait_alu depctr_sa_sdst(0)
	s_cmp_lt_i32 s0, s2
	s_cselect_b32 s0, -1, 0
	.loc	1 90 27                         ; layer_norm_bwd.py:90:27
	v_ashrrev_i32_e32 v54, 31, v53
	.loc	1 88 38                         ; layer_norm_bwd.py:88:38
	s_wait_alu depctr_sa_sdst(0)
	s_and_b32 s69, vcc_lo, s0
	s_delay_alu instid0(VALU_DEP_1)
	v_lshlrev_b64_e32 v[53:54], 2, v[53:54]
	.loc	1 90 22                         ; layer_norm_bwd.py:90:22
	s_and_saveexec_b32 s70, s69
	s_cbranch_execz .LBB0_57
; %bb.56:                               ;   in Loop: Header=BB0_3 Depth=1
	.loc	1 90 27 is_stmt 0               ; layer_norm_bwd.py:90:27
	s_wait_kmcnt 0x0
	s_delay_alu instid0(VALU_DEP_1)
	v_add_co_u32 v55, s0, s8, v53
	s_wait_alu depctr_va_sdst(0)
	v_add_co_ci_u32_e64 v56, null, s9, v54, s0
	.loc	1 90 22                         ; layer_norm_bwd.py:90:22
	global_load_b32 v154, v[55:56], off
.LBB0_57:                               ;   in Loop: Header=BB0_3 Depth=1
	.loc	1 0 22                          ; layer_norm_bwd.py:0:22
	s_or_b32 exec_lo, exec_lo, s70
	v_dual_mov_b32 v156, 0 :: v_dual_add_nc_u32 v55, s37, v1
	.loc	1 87 19 is_stmt 1               ; layer_norm_bwd.py:87:19
	s_add_co_i32 s0, s43, 27
	v_mov_b32_e32 v157, 0
	.loc	1 88 32                         ; layer_norm_bwd.py:88:32
	s_wait_alu depctr_sa_sdst(0)
	s_cmp_lt_i32 s0, s2
	.loc	1 90 27                         ; layer_norm_bwd.py:90:27
	v_ashrrev_i32_e32 v56, 31, v55
	.loc	1 88 32                         ; layer_norm_bwd.py:88:32
	s_cselect_b32 s0, -1, 0
	.loc	1 88 38 is_stmt 0               ; layer_norm_bwd.py:88:38
	s_wait_alu depctr_sa_sdst(0)
	s_and_b32 s70, vcc_lo, s0
	s_delay_alu instid0(VALU_DEP_1)
	v_lshlrev_b64_e32 v[55:56], 2, v[55:56]
	.loc	1 90 22 is_stmt 1               ; layer_norm_bwd.py:90:22
	s_and_saveexec_b32 s71, s70
	s_cbranch_execz .LBB0_59
; %bb.58:                               ;   in Loop: Header=BB0_3 Depth=1
	.loc	1 90 27 is_stmt 0               ; layer_norm_bwd.py:90:27
	s_wait_kmcnt 0x0
	s_delay_alu instid0(VALU_DEP_1)
	v_add_co_u32 v57, s0, s8, v55
	s_wait_alu depctr_va_sdst(0)
	v_add_co_ci_u32_e64 v58, null, s9, v56, s0
	.loc	1 90 22                         ; layer_norm_bwd.py:90:22
	global_load_b32 v157, v[57:58], off
.LBB0_59:                               ;   in Loop: Header=BB0_3 Depth=1
	.loc	1 0 22                          ; layer_norm_bwd.py:0:22
	s_or_b32 exec_lo, exec_lo, s71
	v_add_nc_u32_e32 v57, s38, v1
	.loc	1 87 19 is_stmt 1               ; layer_norm_bwd.py:87:19
	s_add_co_i32 s0, s43, 28
	.loc	1 88 32                         ; layer_norm_bwd.py:88:32
	s_wait_alu depctr_sa_sdst(0)
	s_cmp_lt_i32 s0, s2
	s_cselect_b32 s0, -1, 0
	.loc	1 90 27                         ; layer_norm_bwd.py:90:27
	v_ashrrev_i32_e32 v58, 31, v57
	.loc	1 88 38                         ; layer_norm_bwd.py:88:38
	s_wait_alu depctr_sa_sdst(0)
	s_and_b32 s71, vcc_lo, s0
	s_delay_alu instid0(VALU_DEP_1)
	v_lshlrev_b64_e32 v[57:58], 2, v[57:58]
	.loc	1 90 22                         ; layer_norm_bwd.py:90:22
	s_and_saveexec_b32 s72, s71
	s_cbranch_execz .LBB0_61
; %bb.60:                               ;   in Loop: Header=BB0_3 Depth=1
	.loc	1 90 27 is_stmt 0               ; layer_norm_bwd.py:90:27
	s_wait_kmcnt 0x0
	s_delay_alu instid0(VALU_DEP_1)
	v_add_co_u32 v59, s0, s8, v57
	s_wait_alu depctr_va_sdst(0)
	v_add_co_ci_u32_e64 v60, null, s9, v58, s0
	.loc	1 90 22                         ; layer_norm_bwd.py:90:22
	global_load_b32 v156, v[59:60], off
.LBB0_61:                               ;   in Loop: Header=BB0_3 Depth=1
	.loc	1 0 22                          ; layer_norm_bwd.py:0:22
	s_or_b32 exec_lo, exec_lo, s72
	v_dual_mov_b32 v158, 0 :: v_dual_add_nc_u32 v59, s39, v1
	.loc	1 87 19 is_stmt 1               ; layer_norm_bwd.py:87:19
	s_add_co_i32 s0, s43, 29
	v_mov_b32_e32 v159, 0
	.loc	1 88 32                         ; layer_norm_bwd.py:88:32
	s_wait_alu depctr_sa_sdst(0)
	s_cmp_lt_i32 s0, s2
	.loc	1 90 27                         ; layer_norm_bwd.py:90:27
	v_ashrrev_i32_e32 v60, 31, v59
	.loc	1 88 32                         ; layer_norm_bwd.py:88:32
	s_cselect_b32 s0, -1, 0
	.loc	1 88 38 is_stmt 0               ; layer_norm_bwd.py:88:38
	s_wait_alu depctr_sa_sdst(0)
	s_and_b32 s72, vcc_lo, s0
	s_delay_alu instid0(VALU_DEP_1)
	v_lshlrev_b64_e32 v[59:60], 2, v[59:60]
	.loc	1 90 22 is_stmt 1               ; layer_norm_bwd.py:90:22
	s_and_saveexec_b32 s73, s72
	s_cbranch_execz .LBB0_63
; %bb.62:                               ;   in Loop: Header=BB0_3 Depth=1
	.loc	1 90 27 is_stmt 0               ; layer_norm_bwd.py:90:27
	s_wait_kmcnt 0x0
	s_delay_alu instid0(VALU_DEP_1)
	v_add_co_u32 v61, s0, s8, v59
	s_wait_alu depctr_va_sdst(0)
	v_add_co_ci_u32_e64 v62, null, s9, v60, s0
	.loc	1 90 22                         ; layer_norm_bwd.py:90:22
	global_load_b32 v159, v[61:62], off
.LBB0_63:                               ;   in Loop: Header=BB0_3 Depth=1
	.loc	1 0 22                          ; layer_norm_bwd.py:0:22
	s_or_b32 exec_lo, exec_lo, s73
	v_add_nc_u32_e32 v61, s40, v1
	.loc	1 87 19 is_stmt 1               ; layer_norm_bwd.py:87:19
	s_add_co_i32 s0, s43, 30
	.loc	1 88 32                         ; layer_norm_bwd.py:88:32
	s_wait_alu depctr_sa_sdst(0)
	s_cmp_lt_i32 s0, s2
	s_cselect_b32 s0, -1, 0
	.loc	1 90 27                         ; layer_norm_bwd.py:90:27
	v_ashrrev_i32_e32 v62, 31, v61
	.loc	1 88 38                         ; layer_norm_bwd.py:88:38
	s_wait_alu depctr_sa_sdst(0)
	s_and_b32 s73, vcc_lo, s0
	s_delay_alu instid0(VALU_DEP_1)
	v_lshlrev_b64_e32 v[61:62], 2, v[61:62]
	.loc	1 90 22                         ; layer_norm_bwd.py:90:22
	s_and_saveexec_b32 s74, s73
	s_cbranch_execz .LBB0_65
; %bb.64:                               ;   in Loop: Header=BB0_3 Depth=1
	.loc	1 90 27 is_stmt 0               ; layer_norm_bwd.py:90:27
	s_wait_kmcnt 0x0
	s_delay_alu instid0(VALU_DEP_1)
	v_add_co_u32 v63, s0, s8, v61
	s_wait_alu depctr_va_sdst(0)
	v_add_co_ci_u32_e64 v64, null, s9, v62, s0
	.loc	1 90 22                         ; layer_norm_bwd.py:90:22
	global_load_b32 v158, v[63:64], off
.LBB0_65:                               ;   in Loop: Header=BB0_3 Depth=1
	.loc	1 0 22                          ; layer_norm_bwd.py:0:22
	s_or_b32 exec_lo, exec_lo, s74
	v_dual_mov_b32 v160, 0 :: v_dual_add_nc_u32 v63, s41, v1
	.loc	1 88 32 is_stmt 1               ; layer_norm_bwd.py:88:32
	s_add_co_i32 s0, s43, 31
	v_mov_b32_e32 v161, 0
	s_wait_alu depctr_sa_sdst(0)
	s_cmp_lt_i32 s0, s2
	.loc	1 90 27                         ; layer_norm_bwd.py:90:27
	v_ashrrev_i32_e32 v64, 31, v63
	.loc	1 88 32                         ; layer_norm_bwd.py:88:32
	s_cselect_b32 s0, -1, 0
	.loc	1 88 38 is_stmt 0               ; layer_norm_bwd.py:88:38
	s_wait_alu depctr_sa_sdst(0)
	s_and_b32 s74, vcc_lo, s0
	s_delay_alu instid0(VALU_DEP_1)
	v_lshlrev_b64_e32 v[63:64], 2, v[63:64]
	.loc	1 90 22 is_stmt 1               ; layer_norm_bwd.py:90:22
	s_and_saveexec_b32 s75, s74
	s_cbranch_execz .LBB0_67
; %bb.66:                               ;   in Loop: Header=BB0_3 Depth=1
	.loc	1 90 27 is_stmt 0               ; layer_norm_bwd.py:90:27
	s_wait_kmcnt 0x0
	s_delay_alu instid0(VALU_DEP_1)
	v_add_co_u32 v162, s0, s8, v63
	s_wait_alu depctr_va_sdst(0)
	v_add_co_ci_u32_e64 v163, null, s9, v64, s0
	.loc	1 90 22                         ; layer_norm_bwd.py:90:22
	global_load_b32 v160, v[162:163], off
.LBB0_67:                               ;   in Loop: Header=BB0_3 Depth=1
	.loc	1 0 22                          ; layer_norm_bwd.py:0:22
	s_or_b32 exec_lo, exec_lo, s75
	.loc	1 91 22 is_stmt 1               ; layer_norm_bwd.py:91:22
	s_and_saveexec_b32 s75, vcc_lo
	s_cbranch_execz .LBB0_69
; %bb.68:                               ;   in Loop: Header=BB0_3 Depth=1
	.loc	1 0 22 is_stmt 0                ; layer_norm_bwd.py:0:22
	v_lshlrev_b64_e32 v[161:162], 2, v[1:2]
	s_wait_kmcnt 0x0
	s_delay_alu instid0(VALU_DEP_1) | instskip(SKIP_1) | instid1(VALU_DEP_2)
	v_add_co_u32 v161, s0, s10, v161
	s_wait_alu depctr_va_sdst(0)
	v_add_co_ci_u32_e64 v162, null, s11, v162, s0
	.loc	1 91 22                         ; layer_norm_bwd.py:91:22
	global_load_b32 v161, v[161:162], off
.LBB0_69:                               ;   in Loop: Header=BB0_3 Depth=1
	.loc	1 0 22                          ; layer_norm_bwd.py:0:22
	s_or_b32 exec_lo, exec_lo, s75
	v_mov_b32_e32 v2, 0
	v_mov_b32_e32 v162, 0
	.loc	1 91 22                         ; layer_norm_bwd.py:91:22
	s_and_saveexec_b32 s75, s44
	s_cbranch_execz .LBB0_71
; %bb.70:                               ;   in Loop: Header=BB0_3 Depth=1
	.loc	1 91 27                         ; layer_norm_bwd.py:91:27
	s_wait_kmcnt 0x0
	v_add_co_u32 v3, s0, s10, v3
	s_wait_alu depctr_va_sdst(0)
	v_add_co_ci_u32_e64 v4, null, s11, v4, s0
	.loc	1 91 22                         ; layer_norm_bwd.py:91:22
	global_load_b32 v162, v[3:4], off
.LBB0_71:                               ;   in Loop: Header=BB0_3 Depth=1
	.loc	1 0 22                          ; layer_norm_bwd.py:0:22
	s_or_b32 exec_lo, exec_lo, s75
	.loc	1 91 22                         ; layer_norm_bwd.py:91:22
	s_and_saveexec_b32 s44, s45
	s_cbranch_execz .LBB0_73
; %bb.72:                               ;   in Loop: Header=BB0_3 Depth=1
	.loc	1 91 27                         ; layer_norm_bwd.py:91:27
	s_wait_kmcnt 0x0
	v_add_co_u32 v2, s0, s10, v5
	s_wait_alu depctr_va_sdst(0)
	v_add_co_ci_u32_e64 v3, null, s11, v6, s0
	.loc	1 91 22                         ; layer_norm_bwd.py:91:22
	global_load_b32 v2, v[2:3], off
.LBB0_73:                               ;   in Loop: Header=BB0_3 Depth=1
	.loc	1 0 22                          ; layer_norm_bwd.py:0:22
	s_or_b32 exec_lo, exec_lo, s44
	v_dual_mov_b32 v3, 0 :: v_dual_mov_b32 v4, 0
	.loc	1 91 22                         ; layer_norm_bwd.py:91:22
	s_and_saveexec_b32 s44, s46
	s_cbranch_execz .LBB0_75
; %bb.74:                               ;   in Loop: Header=BB0_3 Depth=1
	.loc	1 91 27                         ; layer_norm_bwd.py:91:27
	s_wait_kmcnt 0x0
	v_add_co_u32 v4, s0, s10, v7
	s_wait_alu depctr_va_sdst(0)
	v_add_co_ci_u32_e64 v5, null, s11, v8, s0
	.loc	1 91 22                         ; layer_norm_bwd.py:91:22
	global_load_b32 v4, v[4:5], off
.LBB0_75:                               ;   in Loop: Header=BB0_3 Depth=1
	.loc	1 0 22                          ; layer_norm_bwd.py:0:22
	s_or_b32 exec_lo, exec_lo, s44
	.loc	1 91 22                         ; layer_norm_bwd.py:91:22
	s_and_saveexec_b32 s44, s47
	s_cbranch_execz .LBB0_77
; %bb.76:                               ;   in Loop: Header=BB0_3 Depth=1
	.loc	1 91 27                         ; layer_norm_bwd.py:91:27
	s_wait_kmcnt 0x0
	v_add_co_u32 v5, s0, s10, v9
	s_wait_alu depctr_va_sdst(0)
	v_add_co_ci_u32_e64 v6, null, s11, v10, s0
	.loc	1 91 22                         ; layer_norm_bwd.py:91:22
	global_load_b32 v3, v[5:6], off
.LBB0_77:                               ;   in Loop: Header=BB0_3 Depth=1
	.loc	1 0 22                          ; layer_norm_bwd.py:0:22
	s_or_b32 exec_lo, exec_lo, s44
	v_dual_mov_b32 v5, 0 :: v_dual_mov_b32 v6, 0
	;; [unrolled: 29-line block ×7, first 2 shown]
	.loc	1 91 22                         ; layer_norm_bwd.py:91:22
	s_and_saveexec_b32 s44, s58
	s_cbranch_execz .LBB0_99
; %bb.98:                               ;   in Loop: Header=BB0_3 Depth=1
	.loc	1 91 27                         ; layer_norm_bwd.py:91:27
	s_wait_kmcnt 0x0
	v_add_co_u32 v16, s0, s10, v31
	s_wait_alu depctr_va_sdst(0)
	v_add_co_ci_u32_e64 v17, null, s11, v32, s0
	.loc	1 91 22                         ; layer_norm_bwd.py:91:22
	global_load_b32 v16, v[16:17], off
.LBB0_99:                               ;   in Loop: Header=BB0_3 Depth=1
	.loc	1 0 22                          ; layer_norm_bwd.py:0:22
	s_or_b32 exec_lo, exec_lo, s44
	.loc	1 91 22                         ; layer_norm_bwd.py:91:22
	s_and_saveexec_b32 s44, s59
	s_cbranch_execz .LBB0_101
; %bb.100:                              ;   in Loop: Header=BB0_3 Depth=1
	.loc	1 91 27                         ; layer_norm_bwd.py:91:27
	s_wait_kmcnt 0x0
	v_add_co_u32 v17, s0, s10, v33
	s_wait_alu depctr_va_sdst(0)
	v_add_co_ci_u32_e64 v18, null, s11, v34, s0
	.loc	1 91 22                         ; layer_norm_bwd.py:91:22
	global_load_b32 v15, v[17:18], off
.LBB0_101:                              ;   in Loop: Header=BB0_3 Depth=1
	.loc	1 0 22                          ; layer_norm_bwd.py:0:22
	s_or_b32 exec_lo, exec_lo, s44
	v_dual_mov_b32 v17, 0 :: v_dual_mov_b32 v18, 0
	.loc	1 91 22                         ; layer_norm_bwd.py:91:22
	s_and_saveexec_b32 s44, s60
	s_cbranch_execz .LBB0_103
; %bb.102:                              ;   in Loop: Header=BB0_3 Depth=1
	.loc	1 91 27                         ; layer_norm_bwd.py:91:27
	s_wait_kmcnt 0x0
	v_add_co_u32 v18, s0, s10, v35
	s_wait_alu depctr_va_sdst(0)
	v_add_co_ci_u32_e64 v19, null, s11, v36, s0
	.loc	1 91 22                         ; layer_norm_bwd.py:91:22
	global_load_b32 v18, v[18:19], off
.LBB0_103:                              ;   in Loop: Header=BB0_3 Depth=1
	.loc	1 0 22                          ; layer_norm_bwd.py:0:22
	s_or_b32 exec_lo, exec_lo, s44
	.loc	1 91 22                         ; layer_norm_bwd.py:91:22
	s_and_saveexec_b32 s44, s61
	s_cbranch_execz .LBB0_105
; %bb.104:                              ;   in Loop: Header=BB0_3 Depth=1
	.loc	1 91 27                         ; layer_norm_bwd.py:91:27
	s_wait_kmcnt 0x0
	v_add_co_u32 v19, s0, s10, v37
	s_wait_alu depctr_va_sdst(0)
	v_add_co_ci_u32_e64 v20, null, s11, v38, s0
	.loc	1 91 22                         ; layer_norm_bwd.py:91:22
	global_load_b32 v17, v[19:20], off
.LBB0_105:                              ;   in Loop: Header=BB0_3 Depth=1
	.loc	1 0 22                          ; layer_norm_bwd.py:0:22
	s_or_b32 exec_lo, exec_lo, s44
	v_dual_mov_b32 v19, 0 :: v_dual_mov_b32 v20, 0
	.loc	1 91 22                         ; layer_norm_bwd.py:91:22
	s_and_saveexec_b32 s44, s62
	s_cbranch_execz .LBB0_107
; %bb.106:                              ;   in Loop: Header=BB0_3 Depth=1
	.loc	1 91 27                         ; layer_norm_bwd.py:91:27
	s_wait_kmcnt 0x0
	v_add_co_u32 v20, s0, s10, v39
	s_wait_alu depctr_va_sdst(0)
	v_add_co_ci_u32_e64 v21, null, s11, v40, s0
	.loc	1 91 22                         ; layer_norm_bwd.py:91:22
	global_load_b32 v20, v[20:21], off
.LBB0_107:                              ;   in Loop: Header=BB0_3 Depth=1
	;; [unrolled: 29-line block ×6, first 2 shown]
	.loc	1 0 22                          ; layer_norm_bwd.py:0:22
	s_or_b32 exec_lo, exec_lo, s44
	.loc	1 91 22                         ; layer_norm_bwd.py:91:22
	s_and_saveexec_b32 s44, s71
	s_cbranch_execz .LBB0_125
; %bb.124:                              ;   in Loop: Header=BB0_3 Depth=1
	.loc	1 91 27                         ; layer_norm_bwd.py:91:27
	s_wait_kmcnt 0x0
	v_add_co_u32 v29, s0, s10, v57
	s_wait_alu depctr_va_sdst(0)
	v_add_co_ci_u32_e64 v30, null, s11, v58, s0
	.loc	1 91 22                         ; layer_norm_bwd.py:91:22
	global_load_b32 v27, v[29:30], off
.LBB0_125:                              ;   in Loop: Header=BB0_3 Depth=1
	.loc	1 0 22                          ; layer_norm_bwd.py:0:22
	s_or_b32 exec_lo, exec_lo, s44
	v_dual_mov_b32 v29, 0 :: v_dual_mov_b32 v30, 0
	.loc	1 91 22                         ; layer_norm_bwd.py:91:22
	s_and_saveexec_b32 s44, s72
	s_cbranch_execnz .LBB0_128
; %bb.126:                              ;   in Loop: Header=BB0_3 Depth=1
	.loc	1 0 22                          ; layer_norm_bwd.py:0:22
	s_or_b32 exec_lo, exec_lo, s44
	.loc	1 91 22                         ; layer_norm_bwd.py:91:22
	s_and_saveexec_b32 s44, s73
	s_cbranch_execnz .LBB0_129
.LBB0_127:                              ;   in Loop: Header=BB0_3 Depth=1
	.loc	1 0 22                          ; layer_norm_bwd.py:0:22
	s_or_b32 exec_lo, exec_lo, s44
	v_mov_b32_e32 v31, 0
	.loc	1 91 22                         ; layer_norm_bwd.py:91:22
	s_and_saveexec_b32 s44, s74
	s_cbranch_execz .LBB0_2
	s_branch .LBB0_130
.LBB0_128:                              ;   in Loop: Header=BB0_3 Depth=1
	.loc	1 91 27                         ; layer_norm_bwd.py:91:27
	s_wait_kmcnt 0x0
	v_add_co_u32 v30, s0, s10, v59
	s_wait_alu depctr_va_sdst(0)
	v_add_co_ci_u32_e64 v31, null, s11, v60, s0
	.loc	1 91 22                         ; layer_norm_bwd.py:91:22
	global_load_b32 v30, v[30:31], off
	s_or_b32 exec_lo, exec_lo, s44
	s_and_saveexec_b32 s44, s73
	s_cbranch_execz .LBB0_127
.LBB0_129:                              ;   in Loop: Header=BB0_3 Depth=1
	.loc	1 91 27                         ; layer_norm_bwd.py:91:27
	s_wait_kmcnt 0x0
	v_add_co_u32 v31, s0, s10, v61
	s_wait_alu depctr_va_sdst(0)
	v_add_co_ci_u32_e64 v32, null, s11, v62, s0
	.loc	1 91 22                         ; layer_norm_bwd.py:91:22
	global_load_b32 v29, v[31:32], off
	s_or_b32 exec_lo, exec_lo, s44
	v_mov_b32_e32 v31, 0
	s_and_saveexec_b32 s44, s74
	s_cbranch_execz .LBB0_2
.LBB0_130:                              ;   in Loop: Header=BB0_3 Depth=1
	.loc	1 91 27                         ; layer_norm_bwd.py:91:27
	s_wait_kmcnt 0x0
	v_add_co_u32 v31, s0, s10, v63
	s_wait_alu depctr_va_sdst(0)
	v_add_co_ci_u32_e64 v32, null, s11, v64, s0
	.loc	1 91 22                         ; layer_norm_bwd.py:91:22
	global_load_b32 v31, v[31:32], off
	s_branch .LBB0_2
.LBB0_131:                              ; %._crit_edge.loopexit
.Ltmp1:
	.file	2 "/root/.local/lib/python3.13/site-packages/triton/language" "standard.py"
	.loc	2 263 15 is_stmt 1              ; standard.py:263:15 @[ standard.py:293:36 @[ layer_norm_bwd.py:94:20 ] ]
	v_add_f32_e32 v2, v92, v96
	s_delay_alu instid0(VALU_DEP_1) | instskip(NEXT) | instid1(VALU_DEP_1)
	v_add_f32_e32 v2, v95, v2
.Ltmp2:
	.loc	2 263 15 is_stmt 0              ; standard.py:263:15 @[ standard.py:293:36 @[ layer_norm_bwd.py:93:20 ] ]
	v_dual_add_f32 v1, v127, v128 :: v_dual_add_f32 v2, v94, v2
	s_delay_alu instid0(VALU_DEP_1) | instskip(NEXT) | instid1(VALU_DEP_1)
	v_dual_add_f32 v1, v126, v1 :: v_dual_add_f32 v2, v93, v2
	v_dual_add_f32 v1, v125, v1 :: v_dual_add_f32 v2, v91, v2
	s_delay_alu instid0(VALU_DEP_1) | instskip(NEXT) | instid1(VALU_DEP_1)
	v_dual_add_f32 v1, v124, v1 :: v_dual_add_f32 v2, v90, v2
	;; [unrolled: 3-line block ×14, first 2 shown]
	v_dual_add_f32 v1, v99, v1 :: v_dual_add_f32 v2, v65, v2
	s_delay_alu instid0(VALU_DEP_1) | instskip(NEXT) | instid1(VALU_DEP_1)
	v_add_f32_e32 v1, v98, v1
	v_add_f32_e32 v3, v97, v1
.Ltmp3:
	.loc	1 95 30 is_stmt 1               ; layer_norm_bwd.py:95:30
	s_and_saveexec_b32 s0, vcc_lo
	s_cbranch_execz .LBB0_133
.LBB0_132:
	.loc	1 95 24 is_stmt 0               ; layer_norm_bwd.py:95:24
	v_ashrrev_i32_e32 v1, 31, v0
	s_delay_alu instid0(VALU_DEP_1) | instskip(NEXT) | instid1(VALU_DEP_1)
	v_lshlrev_b64_e32 v[0:1], 2, v[0:1]
	v_add_co_u32 v4, vcc_lo, s4, v0
	s_delay_alu instid0(VALU_DEP_1)
	v_add_co_ci_u32_e64 v5, null, s5, v1, vcc_lo
	.loc	1 96 24 is_stmt 1               ; layer_norm_bwd.py:96:24
	v_add_co_u32 v0, vcc_lo, s6, v0
	s_wait_alu depctr_va_vcc(0)
	v_add_co_ci_u32_e64 v1, null, s7, v1, vcc_lo
	.loc	1 95 30                         ; layer_norm_bwd.py:95:30
	global_store_b32 v[4:5], v3, off
	.loc	1 96 30                         ; layer_norm_bwd.py:96:30
	global_store_b32 v[0:1], v2, off
.LBB0_133:                              ; %.critedge
	.loc	1 96 4                          ; layer_norm_bwd.py:96:4
	s_nop 0
	s_sendmsg sendmsg(MSG_DEALLOC_VGPRS)
	s_endpgm
.LBB0_134:
	.loc	1 0 4 is_stmt 0                 ; layer_norm_bwd.py:0:4
	v_dual_mov_b32 v2, 0 :: v_dual_mov_b32 v3, 0
	.loc	1 95 30 is_stmt 1               ; layer_norm_bwd.py:95:30
	s_and_saveexec_b32 s0, vcc_lo
	s_cbranch_execnz .LBB0_132
	s_branch .LBB0_133
.Ltmp4:
	.section	.rodata,"a",@progbits
	.p2align	6, 0x0
	.amdhsa_kernel _layer_norm_bwd_dwdb
		.amdhsa_group_segment_fixed_size 0
		.amdhsa_private_segment_fixed_size 0
		.amdhsa_kernarg_size 56
		.amdhsa_user_sgpr_count 2
		.amdhsa_user_sgpr_dispatch_ptr 0
		.amdhsa_user_sgpr_queue_ptr 0
		.amdhsa_user_sgpr_kernarg_segment_ptr 1
		.amdhsa_user_sgpr_dispatch_id 0
		.amdhsa_user_sgpr_private_segment_size 0
		.amdhsa_wavefront_size32 1
		.amdhsa_uses_dynamic_stack 0
		.amdhsa_enable_private_segment 0
		.amdhsa_system_sgpr_workgroup_id_x 1
		.amdhsa_system_sgpr_workgroup_id_y 1
		.amdhsa_system_sgpr_workgroup_id_z 1
		.amdhsa_system_sgpr_workgroup_info 0
		.amdhsa_system_vgpr_workitem_id 0
		.amdhsa_next_free_vgpr 164
		.amdhsa_next_free_sgpr 76
		.amdhsa_reserve_vcc 1
		.amdhsa_float_round_mode_32 0
		.amdhsa_float_round_mode_16_64 0
		.amdhsa_float_denorm_mode_32 3
		.amdhsa_float_denorm_mode_16_64 3
		.amdhsa_fp16_overflow 0
		.amdhsa_workgroup_processor_mode 1
		.amdhsa_memory_ordered 1
		.amdhsa_forward_progress 1
		.amdhsa_inst_pref_size 47
		.amdhsa_round_robin_scheduling 0
		.amdhsa_exception_fp_ieee_invalid_op 0
		.amdhsa_exception_fp_denorm_src 0
		.amdhsa_exception_fp_ieee_div_zero 0
		.amdhsa_exception_fp_ieee_overflow 0
		.amdhsa_exception_fp_ieee_underflow 0
		.amdhsa_exception_fp_ieee_inexact 0
		.amdhsa_exception_int_div_zero 0
	.end_amdhsa_kernel
	.text
.Lfunc_end0:
	.size	_layer_norm_bwd_dwdb, .Lfunc_end0-_layer_norm_bwd_dwdb
	.cfi_endproc
                                        ; -- End function
	.set _layer_norm_bwd_dwdb.num_vgpr, 164
	.set _layer_norm_bwd_dwdb.num_agpr, 0
	.set _layer_norm_bwd_dwdb.numbered_sgpr, 76
	.set _layer_norm_bwd_dwdb.num_named_barrier, 0
	.set _layer_norm_bwd_dwdb.private_seg_size, 0
	.set _layer_norm_bwd_dwdb.uses_vcc, 1
	.set _layer_norm_bwd_dwdb.uses_flat_scratch, 0
	.set _layer_norm_bwd_dwdb.has_dyn_sized_stack, 0
	.set _layer_norm_bwd_dwdb.has_recursion, 0
	.set _layer_norm_bwd_dwdb.has_indirect_call, 0
	.section	.AMDGPU.csdata,"",@progbits
; Kernel info:
; codeLenInByte = 5948
; TotalNumSgprs: 78
; NumVgprs: 164
; ScratchSize: 0
; MemoryBound: 0
; FloatMode: 240
; IeeeMode: 1
; LDSByteSize: 0 bytes/workgroup (compile time only)
; SGPRBlocks: 0
; VGPRBlocks: 20
; NumSGPRsForWavesPerEU: 78
; NumVGPRsForWavesPerEU: 164
; Occupancy: 9
; WaveLimiterHint : 0
; COMPUTE_PGM_RSRC2:SCRATCH_EN: 0
; COMPUTE_PGM_RSRC2:USER_SGPR: 2
; COMPUTE_PGM_RSRC2:TRAP_HANDLER: 0
; COMPUTE_PGM_RSRC2:TGID_X_EN: 1
; COMPUTE_PGM_RSRC2:TGID_Y_EN: 1
; COMPUTE_PGM_RSRC2:TGID_Z_EN: 1
; COMPUTE_PGM_RSRC2:TIDIG_COMP_CNT: 0
	.text
	.p2alignl 7, 3214868480
	.fill 96, 4, 3214868480
	.section	.AMDGPU.gpr_maximums,"",@progbits
	.set amdgpu.max_num_vgpr, 0
	.set amdgpu.max_num_agpr, 0
	.set amdgpu.max_num_sgpr, 0
	.set amdgpu.max_num_named_barrier, 0
	.text
	.section	.debug_abbrev,"",@progbits
	.byte	1                               ; Abbreviation Code
	.byte	17                              ; DW_TAG_compile_unit
	.byte	1                               ; DW_CHILDREN_yes
	.byte	37                              ; DW_AT_producer
	.byte	14                              ; DW_FORM_strp
	.byte	19                              ; DW_AT_language
	.byte	5                               ; DW_FORM_data2
	.byte	3                               ; DW_AT_name
	.byte	14                              ; DW_FORM_strp
	.byte	16                              ; DW_AT_stmt_list
	.byte	23                              ; DW_FORM_sec_offset
	.byte	27                              ; DW_AT_comp_dir
	.byte	14                              ; DW_FORM_strp
	.byte	17                              ; DW_AT_low_pc
	.byte	1                               ; DW_FORM_addr
	.byte	18                              ; DW_AT_high_pc
	.byte	6                               ; DW_FORM_data4
	.byte	0                               ; EOM(1)
	.byte	0                               ; EOM(2)
	.byte	2                               ; Abbreviation Code
	.byte	46                              ; DW_TAG_subprogram
	.byte	0                               ; DW_CHILDREN_no
	.byte	3                               ; DW_AT_name
	.byte	14                              ; DW_FORM_strp
	.byte	32                              ; DW_AT_inline
	.byte	11                              ; DW_FORM_data1
	.byte	0                               ; EOM(1)
	.byte	0                               ; EOM(2)
	.byte	3                               ; Abbreviation Code
	.byte	46                              ; DW_TAG_subprogram
	.byte	1                               ; DW_CHILDREN_yes
	.byte	17                              ; DW_AT_low_pc
	.byte	1                               ; DW_FORM_addr
	.byte	18                              ; DW_AT_high_pc
	.byte	6                               ; DW_FORM_data4
	.byte	49                              ; DW_AT_abstract_origin
	.byte	19                              ; DW_FORM_ref4
	.byte	0                               ; EOM(1)
	.byte	0                               ; EOM(2)
	.byte	4                               ; Abbreviation Code
	.byte	29                              ; DW_TAG_inlined_subroutine
	.byte	1                               ; DW_CHILDREN_yes
	.byte	49                              ; DW_AT_abstract_origin
	.byte	19                              ; DW_FORM_ref4
	.byte	17                              ; DW_AT_low_pc
	.byte	1                               ; DW_FORM_addr
	.byte	18                              ; DW_AT_high_pc
	.byte	6                               ; DW_FORM_data4
	.byte	88                              ; DW_AT_call_file
	.byte	11                              ; DW_FORM_data1
	.byte	89                              ; DW_AT_call_line
	.byte	11                              ; DW_FORM_data1
	.byte	87                              ; DW_AT_call_column
	.byte	11                              ; DW_FORM_data1
	.byte	0                               ; EOM(1)
	.byte	0                               ; EOM(2)
	.byte	5                               ; Abbreviation Code
	.byte	29                              ; DW_TAG_inlined_subroutine
	.byte	0                               ; DW_CHILDREN_no
	.byte	49                              ; DW_AT_abstract_origin
	.byte	19                              ; DW_FORM_ref4
	.byte	17                              ; DW_AT_low_pc
	.byte	1                               ; DW_FORM_addr
	.byte	18                              ; DW_AT_high_pc
	.byte	6                               ; DW_FORM_data4
	.byte	88                              ; DW_AT_call_file
	.byte	11                              ; DW_FORM_data1
	.byte	89                              ; DW_AT_call_line
	.byte	5                               ; DW_FORM_data2
	.byte	87                              ; DW_AT_call_column
	.byte	11                              ; DW_FORM_data1
	.byte	0                               ; EOM(1)
	.byte	0                               ; EOM(2)
	;; [unrolled: 1-line block ×3, first 2 shown]
	.section	.debug_info,"",@progbits
.Lcu_begin0:
	.long	.Ldebug_info_end0-.Ldebug_info_start0 ; Length of Unit
.Ldebug_info_start0:
	.short	4                               ; DWARF version number
	.long	.debug_abbrev                   ; Offset Into Abbrev. Section
	.byte	8                               ; Address Size (in bytes)
	.byte	1                               ; Abbrev [1] 0xb:0x8c DW_TAG_compile_unit
	.long	.Linfo_string0                  ; DW_AT_producer
	.short	2                               ; DW_AT_language
	.long	.Linfo_string1                  ; DW_AT_name
	.long	.Lline_table_start0             ; DW_AT_stmt_list
	.long	.Linfo_string2                  ; DW_AT_comp_dir
	.quad	.Lfunc_begin0                   ; DW_AT_low_pc
	.long	.Lfunc_end0-.Lfunc_begin0       ; DW_AT_high_pc
	.byte	2                               ; Abbrev [2] 0x2a:0x6 DW_TAG_subprogram
	.long	.Linfo_string3                  ; DW_AT_name
	.byte	1                               ; DW_AT_inline
	.byte	3                               ; Abbrev [3] 0x30:0x66 DW_TAG_subprogram
	.quad	.Lfunc_begin0                   ; DW_AT_low_pc
	.long	.Lfunc_end0-.Lfunc_begin0       ; DW_AT_high_pc
	.long	42                              ; DW_AT_abstract_origin
	.byte	4                               ; Abbrev [4] 0x41:0x2a DW_TAG_inlined_subroutine
	.long	42                              ; DW_AT_abstract_origin
	.quad	.Ltmp1                          ; DW_AT_low_pc
	.long	.Ltmp2-.Ltmp1                   ; DW_AT_high_pc
	.byte	1                               ; DW_AT_call_file
	.byte	94                              ; DW_AT_call_line
	.byte	20                              ; DW_AT_call_column
	.byte	5                               ; Abbrev [5] 0x55:0x15 DW_TAG_inlined_subroutine
	.long	42                              ; DW_AT_abstract_origin
	.quad	.Ltmp1                          ; DW_AT_low_pc
	.long	.Ltmp2-.Ltmp1                   ; DW_AT_high_pc
	.byte	2                               ; DW_AT_call_file
	.short	293                             ; DW_AT_call_line
	.byte	36                              ; DW_AT_call_column
	.byte	0                               ; End Of Children Mark
	.byte	4                               ; Abbrev [4] 0x6b:0x2a DW_TAG_inlined_subroutine
	.long	42                              ; DW_AT_abstract_origin
	.quad	.Ltmp2                          ; DW_AT_low_pc
	.long	.Ltmp3-.Ltmp2                   ; DW_AT_high_pc
	.byte	1                               ; DW_AT_call_file
	.byte	93                              ; DW_AT_call_line
	.byte	20                              ; DW_AT_call_column
	.byte	5                               ; Abbrev [5] 0x7f:0x15 DW_TAG_inlined_subroutine
	.long	42                              ; DW_AT_abstract_origin
	.quad	.Ltmp2                          ; DW_AT_low_pc
	.long	.Ltmp3-.Ltmp2                   ; DW_AT_high_pc
	.byte	2                               ; DW_AT_call_file
	.short	293                             ; DW_AT_call_line
	.byte	36                              ; DW_AT_call_column
	.byte	0                               ; End Of Children Mark
	.byte	0                               ; End Of Children Mark
	;; [unrolled: 1-line block ×3, first 2 shown]
.Ldebug_info_end0:
	.section	.debug_str,"MS",@progbits,1
.Linfo_string0:
	.asciz	"triton"                        ; string offset=0
.Linfo_string1:
	.asciz	"layer_norm_bwd.py"             ; string offset=7
.Linfo_string2:
	.asciz	"/root/src/amdgpu-assembly/repos/triton-lang__triton-aot" ; string offset=25
.Linfo_string3:
	.asciz	"_layer_norm_bwd_dwdb"          ; string offset=81
	.section	".note.GNU-stack","",@progbits
	.amdgpu_metadata
---
amdhsa.kernels:
  - .args:
      - .address_space:  global
        .offset:         0
        .size:           8
        .value_kind:     global_buffer
      - .address_space:  global
        .offset:         8
        .size:           8
        .value_kind:     global_buffer
      - .address_space:  global
        .offset:         16
        .size:           8
        .value_kind:     global_buffer
      - .address_space:  global
        .offset:         24
        .size:           8
        .value_kind:     global_buffer
      - .offset:         32
        .size:           4
        .value_kind:     by_value
      - .offset:         36
        .size:           4
        .value_kind:     by_value
      - .address_space:  global
        .offset:         40
        .size:           8
        .value_kind:     global_buffer
      - .address_space:  global
        .offset:         48
        .size:           8
        .value_kind:     global_buffer
    .group_segment_fixed_size: 0
    .kernarg_segment_align: 8
    .kernarg_segment_size: 56
    .max_flat_workgroup_size: 128
    .name:           _layer_norm_bwd_dwdb
    .private_segment_fixed_size: 0
    .sgpr_count:     78
    .sgpr_spill_count: 0
    .symbol:         _layer_norm_bwd_dwdb.kd
    .uniform_work_group_size: 1
    .uses_dynamic_stack: false
    .vgpr_count:     164
    .vgpr_spill_count: 0
    .wavefront_size: 32
    .workgroup_processor_mode: 1
amdhsa.target:   amdgcn-amd-amdhsa--gfx1201
amdhsa.version:
  - 1
  - 2
...

	.end_amdgpu_metadata
	.section	.debug_line,"",@progbits
.Lline_table_start0:
